;; amdgpu-corpus repo=ROCm/rocFFT kind=compiled arch=gfx906 opt=O3
	.text
	.amdgcn_target "amdgcn-amd-amdhsa--gfx906"
	.amdhsa_code_object_version 6
	.protected	fft_rtc_fwd_len60_factors_6_10_wgs_160_tpt_10_half_ip_CI_sbcc_twdbase5_3step_dirReg_intrinsicRead ; -- Begin function fft_rtc_fwd_len60_factors_6_10_wgs_160_tpt_10_half_ip_CI_sbcc_twdbase5_3step_dirReg_intrinsicRead
	.globl	fft_rtc_fwd_len60_factors_6_10_wgs_160_tpt_10_half_ip_CI_sbcc_twdbase5_3step_dirReg_intrinsicRead
	.p2align	8
	.type	fft_rtc_fwd_len60_factors_6_10_wgs_160_tpt_10_half_ip_CI_sbcc_twdbase5_3step_dirReg_intrinsicRead,@function
fft_rtc_fwd_len60_factors_6_10_wgs_160_tpt_10_half_ip_CI_sbcc_twdbase5_3step_dirReg_intrinsicRead: ; @fft_rtc_fwd_len60_factors_6_10_wgs_160_tpt_10_half_ip_CI_sbcc_twdbase5_3step_dirReg_intrinsicRead
; %bb.0:
	s_load_dwordx8 s[8:15], s[4:5], 0x8
	s_movk_i32 s0, 0x60
	v_cmp_gt_u32_e64 s[0:1], s0, v0
	s_and_saveexec_b64 s[2:3], s[0:1]
	s_cbranch_execz .LBB0_2
; %bb.1:
	v_lshlrev_b32_e32 v1, 2, v0
	s_waitcnt lgkmcnt(0)
	global_load_dword v2, v1, s[8:9]
	v_add_u32_e32 v1, 0, v1
	s_waitcnt vmcnt(0)
	ds_write_b32 v1, v2 offset:3840
.LBB0_2:
	s_or_b64 exec, exec, s[2:3]
	s_waitcnt lgkmcnt(0)
	s_load_dwordx2 s[22:23], s[12:13], 0x8
	s_mov_b32 s7, 0
	s_mov_b64 s[26:27], 0
	s_waitcnt lgkmcnt(0)
	s_add_u32 s2, s22, -1
	s_addc_u32 s3, s23, -1
	s_lshr_b64 s[2:3], s[2:3], 4
	s_add_u32 s24, s2, 1
	s_addc_u32 s25, s3, 0
	v_mov_b32_e32 v1, s24
	v_mov_b32_e32 v2, s25
	v_cmp_lt_u64_e32 vcc, s[6:7], v[1:2]
	s_cbranch_vccnz .LBB0_4
; %bb.3:
	v_cvt_f32_u32_e32 v1, s24
	s_sub_i32 s2, 0, s24
	s_mov_b32 s27, s7
	v_rcp_iflag_f32_e32 v1, v1
	v_mul_f32_e32 v1, 0x4f7ffffe, v1
	v_cvt_u32_f32_e32 v1, v1
	v_readfirstlane_b32 s3, v1
	s_mul_i32 s2, s2, s3
	s_mul_hi_u32 s2, s3, s2
	s_add_i32 s3, s3, s2
	s_mul_hi_u32 s2, s6, s3
	s_mul_i32 s8, s2, s24
	s_sub_i32 s8, s6, s8
	s_add_i32 s3, s2, 1
	s_sub_i32 s9, s8, s24
	s_cmp_ge_u32 s8, s24
	s_cselect_b32 s2, s3, s2
	s_cselect_b32 s8, s9, s8
	s_add_i32 s3, s2, 1
	s_cmp_ge_u32 s8, s24
	s_cselect_b32 s26, s3, s2
.LBB0_4:
	s_load_dwordx4 s[16:19], s[14:15], 0x0
	s_mul_i32 s2, s26, s25
	s_mul_hi_u32 s3, s26, s24
	s_add_i32 s3, s3, s2
	s_mul_i32 s2, s26, s24
	s_sub_u32 s2, s6, s2
	s_subb_u32 s3, 0, s3
	v_mov_b32_e32 v1, s2
	v_alignbit_b32 v1, s3, v1, 28
	s_waitcnt lgkmcnt(0)
	v_mul_lo_u32 v1, s18, v1
	s_load_dwordx2 s[8:9], s[4:5], 0x58
	s_load_dwordx2 s[20:21], s[4:5], 0x0
	s_lshl_b64 s[4:5], s[2:3], 4
	s_mul_hi_u32 s2, s18, s4
	v_add_u32_e32 v1, s2, v1
	s_mul_i32 s2, s19, s4
	v_add_u32_e32 v3, s2, v1
	v_cmp_lt_u64_e64 s[2:3], s[10:11], 3
	s_mul_i32 s28, s18, s4
	v_mov_b32_e32 v4, s28
	s_and_b64 vcc, exec, s[2:3]
	s_cbranch_vccnz .LBB0_13
; %bb.5:
	s_add_u32 s28, s14, 16
	s_addc_u32 s29, s15, 0
	s_add_u32 s12, s12, 16
	v_mov_b32_e32 v1, s10
	s_addc_u32 s13, s13, 0
	s_mov_b64 s[30:31], 2
	s_mov_b32 s34, 0
	v_mov_b32_e32 v2, s11
	s_branch .LBB0_7
.LBB0_6:                                ;   in Loop: Header=BB0_7 Depth=1
	s_mul_i32 s25, s36, s25
	s_mul_hi_u32 s33, s36, s24
	s_add_i32 s25, s33, s25
	s_mul_i32 s33, s37, s24
	s_add_i32 s25, s25, s33
	s_mul_i32 s33, s2, s37
	s_mul_hi_u32 s35, s2, s36
	s_load_dwordx2 s[38:39], s[28:29], 0x0
	s_add_i32 s33, s35, s33
	s_mul_i32 s35, s3, s36
	s_add_i32 s33, s33, s35
	s_mul_i32 s35, s2, s36
	s_sub_u32 s26, s26, s35
	s_subb_u32 s27, s27, s33
	s_waitcnt lgkmcnt(0)
	s_mul_i32 s27, s38, s27
	s_mul_hi_u32 s33, s38, s26
	s_add_i32 s27, s33, s27
	s_mul_i32 s33, s39, s26
	s_add_i32 s27, s27, s33
	s_mul_i32 s26, s38, s26
	s_add_u32 s30, s30, 1
	v_mov_b32_e32 v5, s27
	v_add_co_u32_e32 v4, vcc, s26, v4
	s_addc_u32 s31, s31, 0
	v_addc_co_u32_e32 v3, vcc, v5, v3, vcc
	s_add_u32 s28, s28, 8
	s_addc_u32 s29, s29, 0
	v_cmp_ge_u64_e32 vcc, s[30:31], v[1:2]
	s_add_u32 s12, s12, 8
	s_mul_i32 s24, s36, s24
	s_addc_u32 s13, s13, 0
	s_mov_b64 s[26:27], s[2:3]
	s_cbranch_vccnz .LBB0_11
.LBB0_7:                                ; =>This Inner Loop Header: Depth=1
	s_load_dwordx2 s[36:37], s[12:13], 0x0
	s_waitcnt lgkmcnt(0)
	s_or_b64 s[2:3], s[26:27], s[36:37]
	s_mov_b32 s35, s3
	s_cmp_lg_u64 s[34:35], 0
	s_cbranch_scc0 .LBB0_9
; %bb.8:                                ;   in Loop: Header=BB0_7 Depth=1
	v_cvt_f32_u32_e32 v5, s36
	v_cvt_f32_u32_e32 v6, s37
	s_sub_u32 s2, 0, s36
	s_subb_u32 s3, 0, s37
	v_mac_f32_e32 v5, 0x4f800000, v6
	v_rcp_f32_e32 v5, v5
	v_mul_f32_e32 v5, 0x5f7ffffc, v5
	v_mul_f32_e32 v6, 0x2f800000, v5
	v_trunc_f32_e32 v6, v6
	v_mac_f32_e32 v5, 0xcf800000, v6
	v_cvt_u32_f32_e32 v6, v6
	v_cvt_u32_f32_e32 v5, v5
	v_readfirstlane_b32 s33, v6
	v_readfirstlane_b32 s35, v5
	s_mul_i32 s38, s2, s33
	s_mul_hi_u32 s40, s2, s35
	s_mul_i32 s39, s3, s35
	s_add_i32 s38, s40, s38
	s_mul_i32 s41, s2, s35
	s_add_i32 s38, s38, s39
	s_mul_hi_u32 s39, s35, s38
	s_mul_i32 s40, s35, s38
	s_mul_hi_u32 s35, s35, s41
	s_add_u32 s35, s35, s40
	s_addc_u32 s39, 0, s39
	s_mul_hi_u32 s42, s33, s41
	s_mul_i32 s41, s33, s41
	s_add_u32 s35, s35, s41
	s_mul_hi_u32 s40, s33, s38
	s_addc_u32 s35, s39, s42
	s_addc_u32 s39, s40, 0
	s_mul_i32 s38, s33, s38
	s_add_u32 s35, s35, s38
	s_addc_u32 s38, 0, s39
	v_add_co_u32_e32 v5, vcc, s35, v5
	s_cmp_lg_u64 vcc, 0
	s_addc_u32 s33, s33, s38
	v_readfirstlane_b32 s38, v5
	s_mul_i32 s35, s2, s33
	s_mul_hi_u32 s39, s2, s38
	s_add_i32 s35, s39, s35
	s_mul_i32 s3, s3, s38
	s_add_i32 s35, s35, s3
	s_mul_i32 s2, s2, s38
	s_mul_hi_u32 s39, s33, s2
	s_mul_i32 s40, s33, s2
	s_mul_i32 s42, s38, s35
	s_mul_hi_u32 s2, s38, s2
	s_mul_hi_u32 s41, s38, s35
	s_add_u32 s2, s2, s42
	s_addc_u32 s38, 0, s41
	s_add_u32 s2, s2, s40
	s_mul_hi_u32 s3, s33, s35
	s_addc_u32 s2, s38, s39
	s_addc_u32 s3, s3, 0
	s_mul_i32 s35, s33, s35
	s_add_u32 s2, s2, s35
	s_addc_u32 s3, 0, s3
	v_add_co_u32_e32 v5, vcc, s2, v5
	s_cmp_lg_u64 vcc, 0
	s_addc_u32 s2, s33, s3
	v_readfirstlane_b32 s35, v5
	s_mul_i32 s33, s26, s2
	s_mul_hi_u32 s38, s26, s35
	s_mul_hi_u32 s3, s26, s2
	s_add_u32 s33, s38, s33
	s_addc_u32 s3, 0, s3
	s_mul_hi_u32 s39, s27, s35
	s_mul_i32 s35, s27, s35
	s_add_u32 s33, s33, s35
	s_mul_hi_u32 s38, s27, s2
	s_addc_u32 s3, s3, s39
	s_addc_u32 s33, s38, 0
	s_mul_i32 s2, s27, s2
	s_add_u32 s35, s3, s2
	s_addc_u32 s33, 0, s33
	s_mul_i32 s2, s36, s33
	s_mul_hi_u32 s3, s36, s35
	s_add_i32 s2, s3, s2
	s_mul_i32 s3, s37, s35
	s_add_i32 s38, s2, s3
	s_mul_i32 s3, s36, s35
	v_mov_b32_e32 v5, s3
	s_sub_i32 s2, s27, s38
	v_sub_co_u32_e32 v5, vcc, s26, v5
	s_cmp_lg_u64 vcc, 0
	s_subb_u32 s39, s2, s37
	v_subrev_co_u32_e64 v6, s[2:3], s36, v5
	s_cmp_lg_u64 s[2:3], 0
	s_subb_u32 s2, s39, 0
	s_cmp_ge_u32 s2, s37
	v_readfirstlane_b32 s39, v6
	s_cselect_b32 s3, -1, 0
	s_cmp_ge_u32 s39, s36
	s_cselect_b32 s39, -1, 0
	s_cmp_eq_u32 s2, s37
	s_cselect_b32 s2, s39, s3
	s_add_u32 s3, s35, 1
	s_addc_u32 s39, s33, 0
	s_add_u32 s40, s35, 2
	s_addc_u32 s41, s33, 0
	s_cmp_lg_u32 s2, 0
	s_cselect_b32 s2, s40, s3
	s_cselect_b32 s3, s41, s39
	s_cmp_lg_u64 vcc, 0
	s_subb_u32 s38, s27, s38
	s_cmp_ge_u32 s38, s37
	v_readfirstlane_b32 s40, v5
	s_cselect_b32 s39, -1, 0
	s_cmp_ge_u32 s40, s36
	s_cselect_b32 s40, -1, 0
	s_cmp_eq_u32 s38, s37
	s_cselect_b32 s38, s40, s39
	s_cmp_lg_u32 s38, 0
	s_cselect_b32 s3, s3, s33
	s_cselect_b32 s2, s2, s35
	s_cbranch_execnz .LBB0_6
	s_branch .LBB0_10
.LBB0_9:                                ;   in Loop: Header=BB0_7 Depth=1
                                        ; implicit-def: $sgpr2_sgpr3
.LBB0_10:                               ;   in Loop: Header=BB0_7 Depth=1
	v_cvt_f32_u32_e32 v5, s36
	s_sub_i32 s2, 0, s36
	v_rcp_iflag_f32_e32 v5, v5
	v_mul_f32_e32 v5, 0x4f7ffffe, v5
	v_cvt_u32_f32_e32 v5, v5
	v_readfirstlane_b32 s3, v5
	s_mul_i32 s2, s2, s3
	s_mul_hi_u32 s2, s3, s2
	s_add_i32 s3, s3, s2
	s_mul_hi_u32 s2, s26, s3
	s_mul_i32 s33, s2, s36
	s_sub_i32 s33, s26, s33
	s_add_i32 s3, s2, 1
	s_sub_i32 s35, s33, s36
	s_cmp_ge_u32 s33, s36
	s_cselect_b32 s2, s3, s2
	s_cselect_b32 s33, s35, s33
	s_add_i32 s3, s2, 1
	s_cmp_ge_u32 s33, s36
	s_cselect_b32 s2, s3, s2
	s_mov_b32 s3, s34
	s_branch .LBB0_6
.LBB0_11:
	v_mov_b32_e32 v1, s24
	v_mov_b32_e32 v2, s25
	v_cmp_lt_u64_e32 vcc, s[6:7], v[1:2]
	s_mov_b64 s[26:27], 0
	s_cbranch_vccnz .LBB0_13
; %bb.12:
	v_cvt_f32_u32_e32 v1, s24
	s_sub_i32 s2, 0, s24
	v_rcp_iflag_f32_e32 v1, v1
	v_mul_f32_e32 v1, 0x4f7ffffe, v1
	v_cvt_u32_f32_e32 v1, v1
	v_readfirstlane_b32 s3, v1
	s_mul_i32 s2, s2, s3
	s_mul_hi_u32 s2, s3, s2
	s_add_i32 s3, s3, s2
	s_mul_hi_u32 s2, s6, s3
	s_mul_i32 s7, s2, s24
	s_sub_i32 s6, s6, s7
	s_add_i32 s3, s2, 1
	s_sub_i32 s7, s6, s24
	s_cmp_ge_u32 s6, s24
	s_cselect_b32 s2, s3, s2
	s_cselect_b32 s6, s7, s6
	s_add_i32 s3, s2, 1
	s_cmp_ge_u32 s6, s24
	s_cselect_b32 s26, s3, s2
.LBB0_13:
	s_lshl_b64 s[2:3], s[10:11], 3
	s_add_u32 s2, s14, s2
	s_addc_u32 s3, s15, s3
	s_load_dwordx2 s[2:3], s[2:3], 0x0
	v_and_b32_e32 v12, 15, v0
	v_lshrrev_b32_e32 v25, 4, v0
	v_or_b32_e32 v9, s4, v12
	v_mov_b32_e32 v10, s5
	s_waitcnt lgkmcnt(0)
	s_mul_i32 s3, s3, s26
	s_mul_hi_u32 s6, s2, s26
	s_mul_i32 s2, s2, s26
	s_add_i32 s3, s6, s3
	v_mov_b32_e32 v2, s3
	v_add_co_u32_e32 v1, vcc, s2, v4
	s_add_u32 s2, s4, 16
	v_addc_co_u32_e32 v2, vcc, v2, v3, vcc
	s_addc_u32 s3, s5, 0
	v_mad_u64_u32 v[3:4], s[4:5], s18, v12, 0
	v_mad_u64_u32 v[5:6], s[4:5], s16, v25, 0
	v_mov_b32_e32 v7, s22
	v_mov_b32_e32 v8, s23
	v_cmp_le_u64_e32 vcc, s[2:3], v[7:8]
	v_cmp_gt_u64_e64 s[2:3], s[22:23], v[9:10]
	v_add_lshl_u32 v7, v3, v5, 2
	s_or_b64 s[4:5], vcc, s[2:3]
	v_cndmask_b32_e64 v10, -1, v7, s[4:5]
	v_add_u32_e32 v7, 10, v25
	v_mul_lo_u32 v7, s16, v7
	v_add_u32_e32 v11, 20, v25
	v_mul_lo_u32 v11, s16, v11
	v_lshlrev_b32_e32 v8, 2, v1
	v_add_lshl_u32 v7, v3, v7, 2
	v_cndmask_b32_e64 v13, -1, v7, s[4:5]
	v_add_lshl_u32 v7, v3, v11, 2
	s_mov_b32 s11, 0x20000
	s_mov_b32 s10, -2
	v_readfirstlane_b32 s12, v8
	v_cndmask_b32_e64 v11, -1, v7, s[4:5]
	v_add_u32_e32 v15, 40, v25
	v_add_u32_e32 v14, 30, v25
	v_mul_lo_u32 v15, s16, v15
	s_nop 0
	buffer_load_dword v18, v10, s[8:11], s12 offen
	buffer_load_dword v19, v13, s[8:11], s12 offen
	;; [unrolled: 1-line block ×3, first 2 shown]
	v_add_u32_e32 v11, 50, v25
	v_mad_u64_u32 v[7:8], s[6:7], s16, v14, 0
	v_mul_lo_u32 v11, s16, v11
	v_add_lshl_u32 v13, v3, v15, 2
	v_add_lshl_u32 v10, v3, v7, 2
	v_cndmask_b32_e64 v13, -1, v13, s[4:5]
	v_add_lshl_u32 v11, v3, v11, 2
	v_cndmask_b32_e64 v10, -1, v10, s[4:5]
	v_cndmask_b32_e64 v11, -1, v11, s[4:5]
	buffer_load_dword v21, v13, s[8:11], s12 offen
	buffer_load_dword v22, v11, s[8:11], s12 offen
	;; [unrolled: 1-line block ×3, first 2 shown]
	v_mad_u64_u32 v[14:15], s[4:5], s17, v14, v[8:9]
	v_mul_u32_u24_e32 v10, 0x60, v25
	v_mad_u64_u32 v[16:17], s[4:5], s19, v12, v[4:5]
	s_movk_i32 s6, 0x3aee
	v_lshlrev_b32_e32 v13, 2, v10
	s_mov_b32 s7, 0xffff
	s_mov_b32 s10, 0xbaee3aee
	v_lshlrev_b32_e32 v12, 2, v12
                                        ; implicit-def: $vgpr34
	s_waitcnt vmcnt(3)
	v_pk_add_f16 v4, v18, v20
	s_waitcnt vmcnt(2)
	v_pk_add_f16 v8, v20, v21
	v_pk_add_f16 v10, v20, v21 neg_lo:[0,1] neg_hi:[0,1]
	s_waitcnt vmcnt(0)
	v_pk_add_f16 v15, v23, v22
	v_pk_add_f16 v11, v19, v23
	v_pk_add_f16 v17, v23, v22 neg_lo:[0,1] neg_hi:[0,1]
	v_pk_fma_f16 v15, v15, 0.5, v19 op_sel_hi:[1,0,1] neg_lo:[1,0,0] neg_hi:[1,0,0]
	v_pk_add_f16 v4, v4, v21
	v_pk_add_f16 v11, v11, v22
	v_pk_fma_f16 v8, v8, 0.5, v18 op_sel_hi:[1,0,1] neg_lo:[1,0,0] neg_hi:[1,0,0]
	v_pk_mul_f16 v10, v10, s6 op_sel_hi:[1,0]
	v_pk_fma_f16 v19, v17, s6, v15 op_sel:[0,0,1] op_sel_hi:[1,0,0]
	v_pk_add_f16 v18, v8, v10 op_sel:[0,1] op_sel_hi:[1,0]
	v_pk_add_f16 v8, v8, v10 op_sel:[0,1] op_sel_hi:[1,0] neg_lo:[0,1] neg_hi:[0,1]
	v_pk_fma_f16 v15, v17, s6, v15 op_sel:[0,0,1] op_sel_hi:[1,0,0] neg_lo:[1,0,0] neg_hi:[1,0,0]
	v_pk_add_f16 v10, v4, v11
	v_pk_add_f16 v24, v4, v11 neg_lo:[0,1] neg_hi:[0,1]
	v_lshrrev_b32_e32 v11, 16, v19
	v_bfi_b32 v4, s7, v19, v15
	v_mul_f16_e32 v17, 0x3aee, v15
	v_mul_f16_e32 v21, 0xbaee, v11
	v_pk_mul_f16 v19, v4, 0.5 op_sel_hi:[1,0]
	v_fma_f16 v17, v11, 0.5, v17
	v_fma_f16 v15, v15, 0.5, v21
	v_bfi_b32 v20, s7, v8, v18
	v_pk_fma_f16 v4, v4, s10, v19 op_sel:[0,0,1] op_sel_hi:[1,1,0] neg_lo:[0,0,1] neg_hi:[0,0,1]
	v_add_f16_e32 v11, v18, v17
	v_add_f16_sdwa v28, v8, v15 dst_sel:DWORD dst_unused:UNUSED_PAD src0_sel:WORD_1 src1_sel:DWORD
	v_sub_f16_e32 v19, v18, v17
	v_pk_add_f16 v23, v20, v4
	v_pk_add_f16 v20, v20, v4 neg_lo:[0,1] neg_hi:[0,1]
	v_sub_f16_sdwa v30, v8, v15 dst_sel:DWORD dst_unused:UNUSED_PAD src0_sel:WORD_1 src1_sel:DWORD
	v_add3_u32 v4, 0, v13, v12
	v_pack_b32_f16 v8, v11, v28
	ds_write2_b32 v4, v10, v8 offset1:16
	v_pack_b32_f16 v8, v19, v30
	ds_write2_b32 v4, v8, v20 offset0:64 offset1:80
	ds_write2_b32 v4, v23, v24 offset0:32 offset1:48
	v_mov_b32_e32 v4, v6
	v_mad_u64_u32 v[17:18], s[4:5], s17, v25, v[4:5]
	v_lshrrev_b32_e32 v18, 16, v23
	v_lshrrev_b32_e32 v29, 16, v24
	;; [unrolled: 1-line block ×3, first 2 shown]
	s_waitcnt lgkmcnt(0)
	s_barrier
	s_waitcnt lgkmcnt(0)
                                        ; implicit-def: $vgpr15
                                        ; implicit-def: $vgpr4
                                        ; implicit-def: $vgpr8
                                        ; implicit-def: $vgpr13
                                        ; implicit-def: $vgpr22
	s_and_saveexec_b64 s[4:5], s[0:1]
	s_cbranch_execz .LBB0_15
; %bb.14:
	v_and_b32_e32 v0, 0x70, v0
	v_lshlrev_b32_e32 v0, 2, v0
	v_add3_u32 v0, 0, v0, v12
	v_add_u32_e32 v4, 0x200, v0
	ds_read2_b32 v[23:24], v4 offset0:64 offset1:160
	v_add_u32_e32 v4, 0xc00, v0
	ds_read2_b32 v[10:11], v0 offset1:96
	ds_read2_b32 v[12:13], v4 offset1:96
	v_add_u32_e32 v4, 0x400, v0
	v_add_u32_e32 v0, 0x800, v0
	ds_read2_b32 v[19:20], v4 offset0:128 offset1:224
	ds_read2_b32 v[21:22], v0 offset0:64 offset1:160
	s_waitcnt lgkmcnt(2)
	v_lshrrev_b32_e32 v4, 16, v12
	v_lshrrev_b32_e32 v15, 16, v13
	;; [unrolled: 1-line block ×5, first 2 shown]
	s_waitcnt lgkmcnt(1)
	v_lshrrev_b32_e32 v30, 16, v19
	v_lshrrev_b32_e32 v6, 16, v20
	s_waitcnt lgkmcnt(0)
	v_lshrrev_b32_e32 v34, 16, v21
	v_lshrrev_b32_e32 v8, 16, v22
.LBB0_15:
	s_or_b64 exec, exec, s[4:5]
	s_mov_b32 s4, 0x2aaaaaab
	v_mul_hi_u32 v0, v25, s4
	s_add_i32 s4, 0, 0xf00
	v_lshrrev_b32_e32 v57, 16, v10
	s_movk_i32 s7, 0x3b9c
	v_mul_u32_u24_e32 v0, 6, v0
	v_sub_u32_e32 v0, v25, v0
	v_mul_u32_u24_e32 v26, 9, v0
	v_lshlrev_b32_e32 v39, 2, v26
	global_load_dwordx4 v[35:38], v39, s[20:21]
	s_movk_i32 s5, 0x38b4
	s_movk_i32 s10, 0x34f2
	s_mov_b32 s11, 0xbb9c
	s_mov_b32 s6, 0xb8b4
	s_movk_i32 s12, 0x3a79
	s_waitcnt vmcnt(0)
	v_mul_f16_sdwa v26, v18, v36 dst_sel:DWORD dst_unused:UNUSED_PAD src0_sel:DWORD src1_sel:WORD_1
	v_fma_f16 v27, v23, v36, -v26
	v_mul_f16_sdwa v26, v29, v37 dst_sel:DWORD dst_unused:UNUSED_PAD src0_sel:DWORD src1_sel:WORD_1
	v_mul_f16_sdwa v23, v23, v36 dst_sel:DWORD dst_unused:UNUSED_PAD src0_sel:DWORD src1_sel:WORD_1
	;; [unrolled: 1-line block ×3, first 2 shown]
	v_fma_f16 v26, v24, v37, -v26
	v_fma_f16 v24, v18, v36, v23
	v_fma_f16 v18, v29, v37, v31
	v_mul_f16_sdwa v23, v11, v35 dst_sel:DWORD dst_unused:UNUSED_PAD src0_sel:DWORD src1_sel:WORD_1
	v_mul_f16_sdwa v29, v19, v38 dst_sel:DWORD dst_unused:UNUSED_PAD src0_sel:DWORD src1_sel:WORD_1
	v_fma_f16 v23, v28, v35, v23
	v_mul_f16_sdwa v28, v28, v35 dst_sel:DWORD dst_unused:UNUSED_PAD src0_sel:DWORD src1_sel:WORD_1
	v_fma_f16 v29, v30, v38, v29
	v_mul_f16_sdwa v30, v30, v38 dst_sel:DWORD dst_unused:UNUSED_PAD src0_sel:DWORD src1_sel:WORD_1
	v_fma_f16 v28, v11, v35, -v28
	v_fma_f16 v30, v19, v38, -v30
	global_load_dwordx4 v[35:38], v39, s[20:21] offset:16
	s_waitcnt vmcnt(0)
	v_mul_f16_sdwa v11, v6, v35 dst_sel:DWORD dst_unused:UNUSED_PAD src0_sel:DWORD src1_sel:WORD_1
	v_mul_f16_sdwa v19, v34, v36 dst_sel:DWORD dst_unused:UNUSED_PAD src0_sel:DWORD src1_sel:WORD_1
	v_fma_f16 v31, v20, v35, -v11
	v_mul_f16_sdwa v11, v20, v35 dst_sel:DWORD dst_unused:UNUSED_PAD src0_sel:DWORD src1_sel:WORD_1
	v_fma_f16 v33, v21, v36, -v19
	;; [unrolled: 2-line block ×3, first 2 shown]
	v_mul_f16_sdwa v19, v21, v36 dst_sel:DWORD dst_unused:UNUSED_PAD src0_sel:DWORD src1_sel:WORD_1
	v_fma_f16 v20, v6, v35, v11
	v_mul_f16_sdwa v6, v12, v38 dst_sel:DWORD dst_unused:UNUSED_PAD src0_sel:DWORD src1_sel:WORD_1
	v_mul_f16_sdwa v21, v22, v37 dst_sel:DWORD dst_unused:UNUSED_PAD src0_sel:DWORD src1_sel:WORD_1
	v_fma_f16 v22, v34, v36, v19
	v_fma_f16 v34, v4, v38, v6
	v_mul_f16_sdwa v4, v4, v38 dst_sel:DWORD dst_unused:UNUSED_PAD src0_sel:DWORD src1_sel:WORD_1
	v_fma_f16 v35, v12, v38, -v4
	v_mov_b32_e32 v4, v16
	v_mul_lo_u32 v16, v0, v9
	v_fma_f16 v21, v8, v37, v21
	v_mov_b32_e32 v8, v14
	v_mov_b32_e32 v6, v17
	v_and_b32_e32 v0, 31, v16
	v_lshrrev_b32_e32 v11, 3, v16
	v_lshl_add_u32 v0, v0, 2, 0
	v_and_b32_e32 v11, 0x7c, v11
	ds_read_b32 v0, v0 offset:3840
	v_add_u32_e32 v11, s4, v11
	ds_read_b32 v11, v11 offset:128
	v_sub_f16_e32 v48, v20, v21
	v_sub_f16_e32 v51, v31, v32
	s_waitcnt lgkmcnt(1)
	v_lshrrev_b32_e32 v12, 16, v0
	v_sub_f16_e32 v52, v24, v34
	s_waitcnt lgkmcnt(0)
	v_mul_f16_sdwa v14, v12, v11 dst_sel:DWORD dst_unused:UNUSED_PAD src0_sel:DWORD src1_sel:WORD_1
	v_fma_f16 v14, v0, v11, -v14
	v_mul_f16_sdwa v0, v0, v11 dst_sel:DWORD dst_unused:UNUSED_PAD src0_sel:DWORD src1_sel:WORD_1
	v_fma_f16 v0, v12, v11, v0
	v_lshrrev_b32_e32 v11, 8, v16
	v_and_b32_e32 v11, 0x7c, v11
	v_add_u32_e32 v11, s4, v11
	ds_read_b32 v11, v11 offset:256
	v_sub_f16_e32 v53, v29, v22
	v_sub_f16_e32 v55, v27, v35
	;; [unrolled: 1-line block ×3, first 2 shown]
	s_waitcnt lgkmcnt(0)
	v_mul_f16_sdwa v12, v0, v11 dst_sel:DWORD dst_unused:UNUSED_PAD src0_sel:DWORD src1_sel:WORD_1
	v_fma_f16 v36, v11, v14, -v12
	v_mul_f16_sdwa v12, v14, v11 dst_sel:DWORD dst_unused:UNUSED_PAD src0_sel:DWORD src1_sel:WORD_1
	v_fma_f16 v0, v11, v0, v12
	global_load_dword v11, v39, s[20:21] offset:32
	s_waitcnt vmcnt(0)
	v_mul_f16_sdwa v12, v15, v11 dst_sel:DWORD dst_unused:UNUSED_PAD src0_sel:DWORD src1_sel:WORD_1
	v_fma_f16 v45, v13, v11, -v12
	v_mul_f16_sdwa v12, v13, v11 dst_sel:DWORD dst_unused:UNUSED_PAD src0_sel:DWORD src1_sel:WORD_1
	v_fma_f16 v17, v15, v11, v12
	v_add_f16_e32 v11, v30, v33
	v_fma_f16 v39, v11, -0.5, v10
	v_add_f16_e32 v11, v27, v35
	v_fma_f16 v40, v11, -0.5, v10
	v_add_f16_e32 v10, v10, v27
	v_add_f16_e32 v11, v57, v24
	;; [unrolled: 1-line block ×18, first 2 shown]
	v_mul_f16_e32 v15, v14, v0
	v_mul_f16_e32 v0, v13, v0
	v_fma_f16 v14, v14, v36, v0
	v_mul_lo_u32 v0, v9, 6
	v_fma_f16 v13, v13, v36, -v15
	v_sub_f16_e32 v47, v18, v17
	v_sub_f16_e32 v50, v26, v45
	v_add_u32_e32 v58, v16, v0
	v_and_b32_e32 v9, 31, v58
	v_lshrrev_b32_e32 v15, 3, v58
	v_lshl_add_u32 v9, v9, 2, 0
	v_and_b32_e32 v15, 0x7c, v15
	ds_read_b32 v9, v9 offset:3840
	v_add_u32_e32 v15, s4, v15
	ds_read_b32 v15, v15 offset:128
	v_sub_f16_e32 v11, v11, v19
	v_sub_f16_e32 v10, v10, v12
	s_waitcnt lgkmcnt(1)
	v_lshrrev_b32_e32 v16, 16, v9
	s_waitcnt lgkmcnt(0)
	v_mul_f16_sdwa v36, v16, v15 dst_sel:DWORD dst_unused:UNUSED_PAD src0_sel:DWORD src1_sel:WORD_1
	v_fma_f16 v36, v9, v15, -v36
	v_mul_f16_sdwa v9, v9, v15 dst_sel:DWORD dst_unused:UNUSED_PAD src0_sel:DWORD src1_sel:WORD_1
	v_fma_f16 v9, v16, v15, v9
	v_lshrrev_b32_e32 v15, 8, v58
	v_and_b32_e32 v15, 0x7c, v15
	v_add_u32_e32 v15, s4, v15
	ds_read_b32 v15, v15 offset:256
	v_add_u32_e32 v58, v58, v0
	s_waitcnt lgkmcnt(0)
	v_mul_f16_sdwa v16, v9, v15 dst_sel:DWORD dst_unused:UNUSED_PAD src0_sel:DWORD src1_sel:WORD_1
	v_fma_f16 v16, v15, v36, -v16
	v_mul_f16_sdwa v36, v36, v15 dst_sel:DWORD dst_unused:UNUSED_PAD src0_sel:DWORD src1_sel:WORD_1
	v_fma_f16 v59, v15, v9, v36
	v_sub_f16_e32 v9, v27, v30
	v_sub_f16_e32 v15, v35, v33
	v_add_f16_e32 v41, v9, v15
	v_sub_f16_e32 v9, v24, v29
	v_sub_f16_e32 v15, v34, v22
	v_add_f16_e32 v42, v9, v15
	;; [unrolled: 3-line block ×4, first 2 shown]
	v_add_f16_e32 v9, v31, v32
	v_fma_f16 v46, v9, -0.5, v28
	v_fma_f16 v9, v47, s7, v46
	v_fma_f16 v9, v48, s5, v9
	;; [unrolled: 1-line block ×3, first 2 shown]
	v_add_f16_e32 v9, v20, v21
	v_fma_f16 v49, v9, -0.5, v23
	v_fma_f16 v9, v50, s11, v49
	v_fma_f16 v9, v51, s6, v9
	v_fma_f16 v36, v44, s10, v9
	v_mul_f16_e32 v9, 0x38b4, v36
	v_fma_f16 v9, v15, s12, v9
	v_mul_f16_e32 v15, 0xb8b4, v15
	v_fma_f16 v36, v36, s12, v15
	v_fma_f16 v15, v52, s7, v39
	;; [unrolled: 1-line block ×4, first 2 shown]
	v_add_f16_e32 v15, v29, v22
	v_fma_f16 v54, v15, -0.5, v57
	v_fma_f16 v15, v55, s11, v54
	v_fma_f16 v15, v56, s6, v15
	;; [unrolled: 1-line block ×3, first 2 shown]
	v_add_f16_e32 v60, v37, v9
	v_add_f16_e32 v61, v38, v36
	v_mul_f16_e32 v15, v61, v59
	v_mul_f16_e32 v59, v60, v59
	v_fma_f16 v15, v60, v16, -v15
	v_fma_f16 v16, v61, v16, v59
	v_and_b32_e32 v59, 31, v58
	v_lshrrev_b32_e32 v60, 3, v58
	v_lshl_add_u32 v59, v59, 2, 0
	v_and_b32_e32 v60, 0x7c, v60
	ds_read_b32 v59, v59 offset:3840
	v_add_u32_e32 v60, s4, v60
	ds_read_b32 v60, v60 offset:128
	v_sub_f16_e32 v27, v30, v27
	v_sub_f16_e32 v30, v33, v35
	v_add_f16_e32 v30, v27, v30
	v_add_f16_e32 v27, v24, v34
	v_sub_f16_e32 v24, v29, v24
	v_sub_f16_e32 v22, v22, v34
	v_add_f16_e32 v22, v24, v22
	v_add_f16_e32 v24, v26, v45
	s_waitcnt lgkmcnt(1)
	v_lshrrev_b32_e32 v61, 16, v59
	v_fma_f16 v29, v24, -0.5, v28
	v_sub_f16_e32 v24, v31, v26
	v_sub_f16_e32 v26, v32, v45
	s_waitcnt lgkmcnt(0)
	v_mul_f16_sdwa v62, v61, v60 dst_sel:DWORD dst_unused:UNUSED_PAD src0_sel:DWORD src1_sel:WORD_1
	v_add_f16_e32 v31, v24, v26
	v_add_f16_e32 v24, v18, v17
	v_fma_f16 v62, v59, v60, -v62
	v_mul_f16_sdwa v59, v59, v60 dst_sel:DWORD dst_unused:UNUSED_PAD src0_sel:DWORD src1_sel:WORD_1
	v_fma_f16 v23, v24, -0.5, v23
	v_sub_f16_e32 v18, v20, v18
	v_sub_f16_e32 v17, v21, v17
	v_fma_f16 v59, v61, v60, v59
	v_lshrrev_b32_e32 v60, 8, v58
	v_add_f16_e32 v20, v18, v17
	v_fma_f16 v18, v51, s7, v23
	v_and_b32_e32 v60, 0x7c, v60
	v_fma_f16 v17, v48, s11, v29
	v_fma_f16 v18, v50, s6, v18
	v_add_u32_e32 v60, s4, v60
	v_fma_f16 v17, v47, s5, v17
	v_fma_f16 v18, v20, s10, v18
	ds_read_b32 v60, v60 offset:256
	v_fma_f16 v17, v31, s10, v17
	v_mul_f16_e32 v21, 0x3b9c, v18
	v_fma_f16 v24, v17, s10, v21
	v_mul_f16_e32 v17, 0xbb9c, v17
	v_fma_f16 v26, v18, s10, v17
	v_fma_f16 v17, v53, s11, v40
	v_fma_f16 v33, v27, -0.5, v57
	v_fma_f16 v17, v52, s5, v17
	v_fma_f16 v27, v30, s10, v17
	;; [unrolled: 1-line block ×3, first 2 shown]
	s_waitcnt lgkmcnt(0)
	v_mul_f16_sdwa v61, v59, v60 dst_sel:DWORD dst_unused:UNUSED_PAD src0_sel:DWORD src1_sel:WORD_1
	v_fma_f16 v17, v55, s6, v17
	v_fma_f16 v61, v60, v62, -v61
	v_mul_f16_sdwa v62, v62, v60 dst_sel:DWORD dst_unused:UNUSED_PAD src0_sel:DWORD src1_sel:WORD_1
	v_fma_f16 v28, v22, s10, v17
	v_fma_f16 v59, v60, v59, v62
	v_add_f16_e32 v21, v28, v26
	v_add_f16_e32 v18, v27, v24
	v_mul_f16_e32 v17, v21, v59
	v_fma_f16 v17, v18, v61, -v17
	v_mul_f16_e32 v18, v18, v59
	v_add_u32_e32 v32, v58, v0
	v_fma_f16 v18, v21, v61, v18
	v_and_b32_e32 v21, 31, v32
	v_lshrrev_b32_e32 v34, 3, v32
	v_lshl_add_u32 v21, v21, 2, 0
	v_and_b32_e32 v34, 0x7c, v34
	ds_read_b32 v21, v21 offset:3840
	v_add_u32_e32 v34, s4, v34
	ds_read_b32 v34, v34 offset:128
	v_fma_f16 v23, v51, s11, v23
	v_fma_f16 v23, v50, s5, v23
	s_waitcnt lgkmcnt(1)
	v_lshrrev_b32_e32 v35, 16, v21
	v_fma_f16 v20, v20, s10, v23
	s_waitcnt lgkmcnt(0)
	v_mul_f16_sdwa v45, v35, v34 dst_sel:DWORD dst_unused:UNUSED_PAD src0_sel:DWORD src1_sel:WORD_1
	v_fma_f16 v45, v21, v34, -v45
	v_mul_f16_sdwa v21, v21, v34 dst_sel:DWORD dst_unused:UNUSED_PAD src0_sel:DWORD src1_sel:WORD_1
	v_fma_f16 v21, v35, v34, v21
	v_lshrrev_b32_e32 v34, 8, v32
	v_and_b32_e32 v34, 0x7c, v34
	v_add_u32_e32 v34, s4, v34
	ds_read_b32 v34, v34 offset:256
	v_sub_f16_e32 v9, v37, v9
	v_sub_f16_e32 v26, v28, v26
	s_waitcnt lgkmcnt(0)
	v_mul_f16_sdwa v35, v21, v34 dst_sel:DWORD dst_unused:UNUSED_PAD src0_sel:DWORD src1_sel:WORD_1
	v_fma_f16 v57, v34, v45, -v35
	v_mul_f16_sdwa v35, v45, v34 dst_sel:DWORD dst_unused:UNUSED_PAD src0_sel:DWORD src1_sel:WORD_1
	v_fma_f16 v21, v34, v21, v35
	v_fma_f16 v34, v53, s7, v40
	;; [unrolled: 1-line block ×10, first 2 shown]
	v_mul_f16_e32 v23, 0x34f2, v22
	v_fma_f16 v40, v20, s7, -v23
	v_mul_f16_e32 v20, 0x34f2, v20
	v_fma_f16 v45, v22, s11, -v20
	v_add_f16_e32 v22, v34, v40
	v_add_f16_e32 v23, v35, v45
	v_mul_f16_e32 v20, v23, v21
	v_mul_f16_e32 v21, v22, v21
	v_add_u32_e32 v31, v32, v0
	v_fma_f16 v20, v22, v57, -v20
	v_fma_f16 v21, v23, v57, v21
	v_and_b32_e32 v22, 31, v31
	v_lshrrev_b32_e32 v23, 3, v31
	v_lshl_add_u32 v22, v22, 2, 0
	v_and_b32_e32 v23, 0x7c, v23
	ds_read_b32 v22, v22 offset:3840
	v_add_u32_e32 v23, s4, v23
	ds_read_b32 v23, v23 offset:128
	v_fma_f16 v32, v50, s7, v49
	v_fma_f16 v32, v51, s5, v32
	s_waitcnt lgkmcnt(1)
	v_lshrrev_b32_e32 v29, 16, v22
	v_fma_f16 v33, v44, s10, v32
	s_waitcnt lgkmcnt(0)
	v_mul_f16_sdwa v30, v29, v23 dst_sel:DWORD dst_unused:UNUSED_PAD src0_sel:DWORD src1_sel:WORD_1
	v_fma_f16 v30, v22, v23, -v30
	v_mul_f16_sdwa v22, v22, v23 dst_sel:DWORD dst_unused:UNUSED_PAD src0_sel:DWORD src1_sel:WORD_1
	v_fma_f16 v22, v29, v23, v22
	v_lshrrev_b32_e32 v23, 8, v31
	v_and_b32_e32 v23, 0x7c, v23
	v_add_u32_e32 v23, s4, v23
	ds_read_b32 v23, v23 offset:256
	v_sub_f16_e32 v28, v35, v45
	s_waitcnt lgkmcnt(0)
	v_mul_f16_sdwa v29, v22, v23 dst_sel:DWORD dst_unused:UNUSED_PAD src0_sel:DWORD src1_sel:WORD_1
	v_fma_f16 v57, v23, v30, -v29
	v_mul_f16_sdwa v29, v30, v23 dst_sel:DWORD dst_unused:UNUSED_PAD src0_sel:DWORD src1_sel:WORD_1
	v_fma_f16 v23, v23, v22, v29
	v_fma_f16 v22, v52, s11, v39
	;; [unrolled: 1-line block ×10, first 2 shown]
	v_mul_f16_e32 v32, 0x3a79, v22
	v_fma_f16 v32, v33, s5, -v32
	v_mul_f16_e32 v33, 0x3a79, v33
	v_fma_f16 v33, v22, s6, -v33
	v_add_f16_e32 v41, v30, v33
	v_add_f16_e32 v39, v29, v32
	v_mul_f16_e32 v22, v41, v23
	v_fma_f16 v22, v39, v57, -v22
	v_mul_f16_e32 v23, v39, v23
	v_add_u32_e32 v39, v31, v0
	v_fma_f16 v23, v41, v57, v23
	v_and_b32_e32 v31, 31, v39
	v_lshrrev_b32_e32 v41, 3, v39
	v_lshl_add_u32 v31, v31, 2, 0
	v_and_b32_e32 v41, 0x7c, v41
	ds_read_b32 v31, v31 offset:3840
	v_add_u32_e32 v41, s4, v41
	ds_read_b32 v41, v41 offset:128
	s_waitcnt lgkmcnt(1)
	v_lshrrev_b32_e32 v42, 16, v31
	s_waitcnt lgkmcnt(0)
	v_mul_f16_sdwa v43, v42, v41 dst_sel:DWORD dst_unused:UNUSED_PAD src0_sel:DWORD src1_sel:WORD_1
	v_fma_f16 v43, v31, v41, -v43
	v_mul_f16_sdwa v31, v31, v41 dst_sel:DWORD dst_unused:UNUSED_PAD src0_sel:DWORD src1_sel:WORD_1
	v_fma_f16 v31, v42, v41, v31
	v_lshrrev_b32_e32 v41, 8, v39
	v_and_b32_e32 v41, 0x7c, v41
	v_add_u32_e32 v41, s4, v41
	ds_read_b32 v41, v41 offset:256
	s_waitcnt lgkmcnt(0)
	v_mul_f16_sdwa v42, v31, v41 dst_sel:DWORD dst_unused:UNUSED_PAD src0_sel:DWORD src1_sel:WORD_1
	v_fma_f16 v42, v41, v43, -v42
	v_mul_f16_sdwa v43, v43, v41 dst_sel:DWORD dst_unused:UNUSED_PAD src0_sel:DWORD src1_sel:WORD_1
	v_fma_f16 v31, v41, v31, v43
	v_mul_f16_e32 v12, v11, v31
	v_fma_f16 v19, v10, v42, -v12
	v_mul_f16_e32 v10, v10, v31
	v_fma_f16 v31, v11, v42, v10
	v_add_u32_e32 v10, v39, v0
	v_and_b32_e32 v11, 31, v10
	v_lshrrev_b32_e32 v12, 3, v10
	v_lshl_add_u32 v11, v11, 2, 0
	v_and_b32_e32 v12, 0x7c, v12
	ds_read_b32 v11, v11 offset:3840
	v_add_u32_e32 v12, s4, v12
	ds_read_b32 v12, v12 offset:128
	s_waitcnt lgkmcnt(1)
	v_lshrrev_b32_e32 v39, 16, v11
	s_waitcnt lgkmcnt(0)
	v_mul_f16_sdwa v41, v39, v12 dst_sel:DWORD dst_unused:UNUSED_PAD src0_sel:DWORD src1_sel:WORD_1
	v_fma_f16 v41, v11, v12, -v41
	v_mul_f16_sdwa v11, v11, v12 dst_sel:DWORD dst_unused:UNUSED_PAD src0_sel:DWORD src1_sel:WORD_1
	v_fma_f16 v11, v39, v12, v11
	v_lshrrev_b32_e32 v12, 8, v10
	v_and_b32_e32 v12, 0x7c, v12
	v_add_u32_e32 v12, s4, v12
	ds_read_b32 v12, v12 offset:256
	s_waitcnt lgkmcnt(0)
	v_mul_f16_sdwa v39, v11, v12 dst_sel:DWORD dst_unused:UNUSED_PAD src0_sel:DWORD src1_sel:WORD_1
	v_fma_f16 v39, v12, v41, -v39
	v_mul_f16_sdwa v41, v41, v12 dst_sel:DWORD dst_unused:UNUSED_PAD src0_sel:DWORD src1_sel:WORD_1
	v_fma_f16 v11, v12, v11, v41
	v_sub_f16_e32 v12, v38, v36
	v_mul_f16_e32 v36, v12, v11
	v_fma_f16 v36, v9, v39, -v36
	v_mul_f16_e32 v9, v9, v11
	v_fma_f16 v37, v12, v39, v9
	v_add_u32_e32 v9, v10, v0
	v_and_b32_e32 v10, 31, v9
	v_lshrrev_b32_e32 v11, 3, v9
	v_lshl_add_u32 v10, v10, 2, 0
	v_and_b32_e32 v11, 0x7c, v11
	ds_read_b32 v10, v10 offset:3840
	v_add_u32_e32 v11, s4, v11
	ds_read_b32 v11, v11 offset:128
	s_waitcnt lgkmcnt(1)
	v_lshrrev_b32_e32 v12, 16, v10
	s_waitcnt lgkmcnt(0)
	v_mul_f16_sdwa v38, v12, v11 dst_sel:DWORD dst_unused:UNUSED_PAD src0_sel:DWORD src1_sel:WORD_1
	v_fma_f16 v38, v10, v11, -v38
	v_mul_f16_sdwa v10, v10, v11 dst_sel:DWORD dst_unused:UNUSED_PAD src0_sel:DWORD src1_sel:WORD_1
	v_fma_f16 v10, v12, v11, v10
	v_lshrrev_b32_e32 v11, 8, v9
	v_and_b32_e32 v11, 0x7c, v11
	v_add_u32_e32 v11, s4, v11
	ds_read_b32 v11, v11 offset:256
	v_add_u32_e32 v9, v9, v0
	v_add_u32_e32 v0, v9, v0
	s_waitcnt lgkmcnt(0)
	v_mul_f16_sdwa v12, v10, v11 dst_sel:DWORD dst_unused:UNUSED_PAD src0_sel:DWORD src1_sel:WORD_1
	v_fma_f16 v12, v11, v38, -v12
	v_mul_f16_sdwa v38, v38, v11 dst_sel:DWORD dst_unused:UNUSED_PAD src0_sel:DWORD src1_sel:WORD_1
	v_fma_f16 v10, v11, v10, v38
	v_sub_f16_e32 v11, v27, v24
	v_mul_f16_e32 v24, v26, v10
	v_mul_f16_e32 v10, v11, v10
	v_fma_f16 v24, v11, v12, -v24
	v_fma_f16 v26, v26, v12, v10
	v_and_b32_e32 v10, 31, v9
	v_lshrrev_b32_e32 v11, 3, v9
	v_lshl_add_u32 v10, v10, 2, 0
	v_and_b32_e32 v11, 0x7c, v11
	ds_read_b32 v10, v10 offset:3840
	v_add_u32_e32 v11, s4, v11
	ds_read_b32 v11, v11 offset:128
	s_waitcnt lgkmcnt(1)
	v_lshrrev_b32_e32 v12, 16, v10
	s_waitcnt lgkmcnt(0)
	v_mul_f16_sdwa v27, v12, v11 dst_sel:DWORD dst_unused:UNUSED_PAD src0_sel:DWORD src1_sel:WORD_1
	v_fma_f16 v27, v10, v11, -v27
	v_mul_f16_sdwa v10, v10, v11 dst_sel:DWORD dst_unused:UNUSED_PAD src0_sel:DWORD src1_sel:WORD_1
	v_fma_f16 v10, v12, v11, v10
	v_lshrrev_b32_e32 v11, 8, v9
	v_and_b32_e32 v11, 0x7c, v11
	v_add_u32_e32 v11, s4, v11
	ds_read_b32 v11, v11 offset:256
	v_and_b32_e32 v9, 31, v0
	v_lshl_add_u32 v9, v9, 2, 0
	ds_read_b32 v9, v9 offset:3840
	s_waitcnt lgkmcnt(1)
	v_mul_f16_sdwa v12, v10, v11 dst_sel:DWORD dst_unused:UNUSED_PAD src0_sel:DWORD src1_sel:WORD_1
	v_fma_f16 v12, v11, v27, -v12
	v_mul_f16_sdwa v27, v27, v11 dst_sel:DWORD dst_unused:UNUSED_PAD src0_sel:DWORD src1_sel:WORD_1
	v_fma_f16 v10, v11, v10, v27
	v_sub_f16_e32 v11, v34, v40
	v_mul_f16_e32 v27, v28, v10
	v_mul_f16_e32 v10, v11, v10
	v_fma_f16 v28, v28, v12, v10
	v_lshrrev_b32_e32 v10, 3, v0
	v_and_b32_e32 v10, 0x7c, v10
	v_add_u32_e32 v10, s4, v10
	ds_read_b32 v10, v10 offset:128
	v_lshrrev_b32_e32 v0, 8, v0
	v_and_b32_e32 v0, 0x7c, v0
	v_add_u32_e32 v0, s4, v0
	ds_read_b32 v0, v0 offset:256
	v_fma_f16 v27, v11, v12, -v27
	s_waitcnt lgkmcnt(2)
	v_lshrrev_b32_e32 v11, 16, v9
	s_waitcnt lgkmcnt(1)
	v_mul_f16_sdwa v12, v11, v10 dst_sel:DWORD dst_unused:UNUSED_PAD src0_sel:DWORD src1_sel:WORD_1
	v_fma_f16 v12, v9, v10, -v12
	v_mul_f16_sdwa v9, v9, v10 dst_sel:DWORD dst_unused:UNUSED_PAD src0_sel:DWORD src1_sel:WORD_1
	v_fma_f16 v9, v11, v10, v9
	s_waitcnt lgkmcnt(0)
	v_mul_f16_sdwa v10, v9, v0 dst_sel:DWORD dst_unused:UNUSED_PAD src0_sel:DWORD src1_sel:WORD_1
	v_mul_f16_sdwa v11, v12, v0 dst_sel:DWORD dst_unused:UNUSED_PAD src0_sel:DWORD src1_sel:WORD_1
	v_fma_f16 v10, v0, v12, -v10
	v_fma_f16 v0, v0, v9, v11
	v_sub_f16_e32 v9, v29, v32
	v_sub_f16_e32 v11, v30, v33
	v_mul_f16_e32 v12, v11, v0
	v_mul_f16_e32 v0, v9, v0
	v_fma_f16 v29, v9, v10, -v12
	v_fma_f16 v30, v11, v10, v0
	v_lshlrev_b64 v[11:12], 2, v[1:2]
	v_lshlrev_b64 v[9:10], 2, v[3:4]
	;; [unrolled: 1-line block ×4, first 2 shown]
	s_and_b64 s[4:5], s[0:1], vcc
	v_add_u32_e32 v34, 6, v25
	v_add_u32_e32 v33, 12, v25
	v_add_u32_e32 v32, 18, v25
	v_or_b32_e32 v8, 24, v25
	v_add_u32_e32 v7, 36, v25
	v_add_u32_e32 v6, 42, v25
	v_or_b32_e32 v5, 48, v25
	v_add_u32_e32 v4, 54, v25
	s_and_saveexec_b64 s[6:7], s[4:5]
	s_cbranch_execz .LBB0_17
; %bb.16:
	v_mov_b32_e32 v25, s9
	v_add_co_u32_e64 v35, s[4:5], s8, v11
	v_addc_co_u32_e64 v25, s[4:5], v25, v12, s[4:5]
	v_add_co_u32_e64 v35, s[4:5], v35, v9
	v_addc_co_u32_e64 v45, s[4:5], v25, v10, s[4:5]
	v_mad_u64_u32 v[38:39], s[4:5], s16, v34, 0
	v_add_co_u32_e64 v40, s[4:5], v35, v2
	v_mov_b32_e32 v25, v39
	v_addc_co_u32_e64 v41, s[4:5], v45, v3, s[4:5]
	v_mad_u64_u32 v[42:43], s[4:5], s17, v34, v[25:26]
	v_mad_u64_u32 v[43:44], s[4:5], s16, v33, 0
	s_mov_b32 s10, 0x5040100
	v_perm_b32 v46, v14, v13, s10
	v_mov_b32_e32 v25, v44
	global_store_dword v[40:41], v46, off
	v_mov_b32_e32 v39, v42
	v_mad_u64_u32 v[40:41], s[4:5], s17, v33, v[25:26]
	v_lshlrev_b64 v[38:39], 2, v[38:39]
	v_perm_b32 v25, v16, v15, s10
	v_add_co_u32_e64 v38, s[4:5], v35, v38
	v_addc_co_u32_e64 v39, s[4:5], v45, v39, s[4:5]
	v_mov_b32_e32 v44, v40
	v_mad_u64_u32 v[40:41], s[4:5], s16, v32, 0
	global_store_dword v[38:39], v25, off
	v_lshlrev_b64 v[38:39], 2, v[43:44]
	v_mov_b32_e32 v25, v41
	v_add_co_u32_e64 v38, s[4:5], v35, v38
	v_addc_co_u32_e64 v39, s[4:5], v45, v39, s[4:5]
	v_mad_u64_u32 v[41:42], s[4:5], s17, v32, v[25:26]
	v_mad_u64_u32 v[42:43], s[4:5], s16, v8, 0
	v_perm_b32 v44, v18, v17, s10
	global_store_dword v[38:39], v44, off
	v_mov_b32_e32 v25, v43
	v_lshlrev_b64 v[38:39], 2, v[40:41]
	v_mad_u64_u32 v[40:41], s[4:5], s17, v8, v[25:26]
	v_add_co_u32_e64 v38, s[4:5], v35, v38
	v_addc_co_u32_e64 v39, s[4:5], v45, v39, s[4:5]
	v_perm_b32 v25, v21, v20, s10
	v_mov_b32_e32 v43, v40
	global_store_dword v[38:39], v25, off
	v_lshlrev_b64 v[38:39], 2, v[42:43]
	v_perm_b32 v25, v23, v22, s10
	v_add_co_u32_e64 v38, s[4:5], v35, v38
	v_addc_co_u32_e64 v39, s[4:5], v45, v39, s[4:5]
	global_store_dword v[38:39], v25, off
	v_mad_u64_u32 v[38:39], s[4:5], s16, v7, 0
	v_add_co_u32_e64 v40, s[4:5], v35, v0
	v_mov_b32_e32 v25, v39
	v_addc_co_u32_e64 v41, s[4:5], v45, v1, s[4:5]
	v_mad_u64_u32 v[42:43], s[4:5], s17, v7, v[25:26]
	v_mad_u64_u32 v[43:44], s[4:5], s16, v6, 0
	v_perm_b32 v46, v31, v19, s10
	global_store_dword v[40:41], v46, off
	v_mov_b32_e32 v25, v44
	v_mov_b32_e32 v39, v42
	v_mad_u64_u32 v[40:41], s[4:5], s17, v6, v[25:26]
	v_lshlrev_b64 v[38:39], 2, v[38:39]
	v_perm_b32 v25, v37, v36, s10
	v_add_co_u32_e64 v38, s[4:5], v35, v38
	v_addc_co_u32_e64 v39, s[4:5], v45, v39, s[4:5]
	v_mov_b32_e32 v44, v40
	v_mad_u64_u32 v[40:41], s[4:5], s16, v5, 0
	global_store_dword v[38:39], v25, off
	v_lshlrev_b64 v[38:39], 2, v[43:44]
	v_mov_b32_e32 v25, v41
	v_add_co_u32_e64 v38, s[4:5], v35, v38
	v_addc_co_u32_e64 v39, s[4:5], v45, v39, s[4:5]
	v_mad_u64_u32 v[41:42], s[4:5], s17, v5, v[25:26]
	v_mad_u64_u32 v[42:43], s[4:5], s16, v4, 0
	v_perm_b32 v44, v26, v24, s10
	global_store_dword v[38:39], v44, off
	v_mov_b32_e32 v25, v43
	v_lshlrev_b64 v[38:39], 2, v[40:41]
	v_mad_u64_u32 v[40:41], s[4:5], s17, v4, v[25:26]
	v_add_co_u32_e64 v38, s[4:5], v35, v38
	v_addc_co_u32_e64 v39, s[4:5], v45, v39, s[4:5]
	v_perm_b32 v25, v28, v27, s10
	v_mov_b32_e32 v43, v40
	global_store_dword v[38:39], v25, off
	v_lshlrev_b64 v[38:39], 2, v[42:43]
	v_perm_b32 v25, v30, v29, s10
	v_add_co_u32_e64 v38, s[4:5], v35, v38
	v_addc_co_u32_e64 v39, s[4:5], v45, v39, s[4:5]
	global_store_dword v[38:39], v25, off
.LBB0_17:
	s_or_b64 exec, exec, s[6:7]
	s_xor_b64 s[4:5], vcc, -1
	s_and_b64 s[0:1], s[0:1], s[2:3]
	s_and_b64 s[0:1], s[4:5], s[0:1]
	s_and_saveexec_b64 s[2:3], s[0:1]
	s_cbranch_execz .LBB0_19
; %bb.18:
	v_mov_b32_e32 v25, s9
	v_add_co_u32_e32 v11, vcc, s8, v11
	v_addc_co_u32_e32 v12, vcc, v25, v12, vcc
	v_add_co_u32_e32 v25, vcc, v11, v9
	v_addc_co_u32_e32 v35, vcc, v12, v10, vcc
	v_mad_u64_u32 v[9:10], s[0:1], s16, v34, 0
	v_add_co_u32_e32 v2, vcc, v25, v2
	v_mad_u64_u32 v[10:11], s[0:1], s17, v34, v[10:11]
	v_mad_u64_u32 v[11:12], s[0:1], s16, v33, 0
	s_mov_b32 s2, 0x5040100
	v_addc_co_u32_e32 v3, vcc, v35, v3, vcc
	v_perm_b32 v13, v14, v13, s2
	global_store_dword v[2:3], v13, off
	v_lshlrev_b64 v[2:3], 2, v[9:10]
	v_mov_b32_e32 v9, v12
	v_mad_u64_u32 v[9:10], s[0:1], s17, v33, v[9:10]
	v_add_co_u32_e32 v2, vcc, v25, v2
	v_addc_co_u32_e32 v3, vcc, v35, v3, vcc
	v_perm_b32 v10, v16, v15, s2
	global_store_dword v[2:3], v10, off
	v_mov_b32_e32 v12, v9
	v_mad_u64_u32 v[9:10], s[0:1], s16, v32, 0
	v_lshlrev_b64 v[2:3], 2, v[11:12]
	v_perm_b32 v13, v18, v17, s2
	v_mad_u64_u32 v[10:11], s[0:1], s17, v32, v[10:11]
	v_mad_u64_u32 v[11:12], s[0:1], s16, v8, 0
	v_add_co_u32_e32 v2, vcc, v25, v2
	v_addc_co_u32_e32 v3, vcc, v35, v3, vcc
	global_store_dword v[2:3], v13, off
	v_lshlrev_b64 v[2:3], 2, v[9:10]
	v_mov_b32_e32 v9, v12
	v_mad_u64_u32 v[8:9], s[0:1], s17, v8, v[9:10]
	v_add_co_u32_e32 v2, vcc, v25, v2
	v_addc_co_u32_e32 v3, vcc, v35, v3, vcc
	v_perm_b32 v9, v21, v20, s2
	v_mov_b32_e32 v12, v8
	global_store_dword v[2:3], v9, off
	v_lshlrev_b64 v[2:3], 2, v[11:12]
	v_perm_b32 v8, v23, v22, s2
	v_add_co_u32_e32 v2, vcc, v25, v2
	v_addc_co_u32_e32 v3, vcc, v35, v3, vcc
	global_store_dword v[2:3], v8, off
	v_mad_u64_u32 v[2:3], s[0:1], s16, v7, 0
	v_add_co_u32_e32 v0, vcc, v25, v0
	v_mad_u64_u32 v[7:8], s[0:1], s17, v7, v[3:4]
	v_mad_u64_u32 v[8:9], s[0:1], s16, v6, 0
	v_addc_co_u32_e32 v1, vcc, v35, v1, vcc
	v_perm_b32 v10, v31, v19, s2
	v_mov_b32_e32 v3, v7
	global_store_dword v[0:1], v10, off
	v_lshlrev_b64 v[0:1], 2, v[2:3]
	v_mov_b32_e32 v2, v9
	v_mad_u64_u32 v[2:3], s[0:1], s17, v6, v[2:3]
	v_add_co_u32_e32 v0, vcc, v25, v0
	v_addc_co_u32_e32 v1, vcc, v35, v1, vcc
	v_perm_b32 v3, v37, v36, s2
	global_store_dword v[0:1], v3, off
	v_mov_b32_e32 v9, v2
	v_mad_u64_u32 v[2:3], s[0:1], s16, v5, 0
	v_lshlrev_b64 v[0:1], 2, v[8:9]
	v_perm_b32 v8, v26, v24, s2
	v_mad_u64_u32 v[5:6], s[0:1], s17, v5, v[3:4]
	v_mad_u64_u32 v[6:7], s[0:1], s16, v4, 0
	v_add_co_u32_e32 v0, vcc, v25, v0
	v_addc_co_u32_e32 v1, vcc, v35, v1, vcc
	v_mov_b32_e32 v3, v5
	global_store_dword v[0:1], v8, off
	v_lshlrev_b64 v[0:1], 2, v[2:3]
	v_mov_b32_e32 v2, v7
	v_mad_u64_u32 v[2:3], s[0:1], s17, v4, v[2:3]
	v_add_co_u32_e32 v0, vcc, v25, v0
	v_addc_co_u32_e32 v1, vcc, v35, v1, vcc
	v_perm_b32 v3, v28, v27, s2
	v_mov_b32_e32 v7, v2
	global_store_dword v[0:1], v3, off
	v_lshlrev_b64 v[0:1], 2, v[6:7]
	v_perm_b32 v2, v30, v29, s2
	v_add_co_u32_e32 v0, vcc, v25, v0
	v_addc_co_u32_e32 v1, vcc, v35, v1, vcc
	global_store_dword v[0:1], v2, off
.LBB0_19:
	s_endpgm
	.section	.rodata,"a",@progbits
	.p2align	6, 0x0
	.amdhsa_kernel fft_rtc_fwd_len60_factors_6_10_wgs_160_tpt_10_half_ip_CI_sbcc_twdbase5_3step_dirReg_intrinsicRead
		.amdhsa_group_segment_fixed_size 0
		.amdhsa_private_segment_fixed_size 0
		.amdhsa_kernarg_size 96
		.amdhsa_user_sgpr_count 6
		.amdhsa_user_sgpr_private_segment_buffer 1
		.amdhsa_user_sgpr_dispatch_ptr 0
		.amdhsa_user_sgpr_queue_ptr 0
		.amdhsa_user_sgpr_kernarg_segment_ptr 1
		.amdhsa_user_sgpr_dispatch_id 0
		.amdhsa_user_sgpr_flat_scratch_init 0
		.amdhsa_user_sgpr_private_segment_size 0
		.amdhsa_uses_dynamic_stack 0
		.amdhsa_system_sgpr_private_segment_wavefront_offset 0
		.amdhsa_system_sgpr_workgroup_id_x 1
		.amdhsa_system_sgpr_workgroup_id_y 0
		.amdhsa_system_sgpr_workgroup_id_z 0
		.amdhsa_system_sgpr_workgroup_info 0
		.amdhsa_system_vgpr_workitem_id 0
		.amdhsa_next_free_vgpr 63
		.amdhsa_next_free_sgpr 43
		.amdhsa_reserve_vcc 1
		.amdhsa_reserve_flat_scratch 0
		.amdhsa_float_round_mode_32 0
		.amdhsa_float_round_mode_16_64 0
		.amdhsa_float_denorm_mode_32 3
		.amdhsa_float_denorm_mode_16_64 3
		.amdhsa_dx10_clamp 1
		.amdhsa_ieee_mode 1
		.amdhsa_fp16_overflow 0
		.amdhsa_exception_fp_ieee_invalid_op 0
		.amdhsa_exception_fp_denorm_src 0
		.amdhsa_exception_fp_ieee_div_zero 0
		.amdhsa_exception_fp_ieee_overflow 0
		.amdhsa_exception_fp_ieee_underflow 0
		.amdhsa_exception_fp_ieee_inexact 0
		.amdhsa_exception_int_div_zero 0
	.end_amdhsa_kernel
	.text
.Lfunc_end0:
	.size	fft_rtc_fwd_len60_factors_6_10_wgs_160_tpt_10_half_ip_CI_sbcc_twdbase5_3step_dirReg_intrinsicRead, .Lfunc_end0-fft_rtc_fwd_len60_factors_6_10_wgs_160_tpt_10_half_ip_CI_sbcc_twdbase5_3step_dirReg_intrinsicRead
                                        ; -- End function
	.section	.AMDGPU.csdata,"",@progbits
; Kernel info:
; codeLenInByte = 6388
; NumSgprs: 47
; NumVgprs: 63
; ScratchSize: 0
; MemoryBound: 0
; FloatMode: 240
; IeeeMode: 1
; LDSByteSize: 0 bytes/workgroup (compile time only)
; SGPRBlocks: 5
; VGPRBlocks: 15
; NumSGPRsForWavesPerEU: 47
; NumVGPRsForWavesPerEU: 63
; Occupancy: 4
; WaveLimiterHint : 1
; COMPUTE_PGM_RSRC2:SCRATCH_EN: 0
; COMPUTE_PGM_RSRC2:USER_SGPR: 6
; COMPUTE_PGM_RSRC2:TRAP_HANDLER: 0
; COMPUTE_PGM_RSRC2:TGID_X_EN: 1
; COMPUTE_PGM_RSRC2:TGID_Y_EN: 0
; COMPUTE_PGM_RSRC2:TGID_Z_EN: 0
; COMPUTE_PGM_RSRC2:TIDIG_COMP_CNT: 0
	.type	__hip_cuid_2cdde975556b43dc,@object ; @__hip_cuid_2cdde975556b43dc
	.section	.bss,"aw",@nobits
	.globl	__hip_cuid_2cdde975556b43dc
__hip_cuid_2cdde975556b43dc:
	.byte	0                               ; 0x0
	.size	__hip_cuid_2cdde975556b43dc, 1

	.ident	"AMD clang version 19.0.0git (https://github.com/RadeonOpenCompute/llvm-project roc-6.4.0 25133 c7fe45cf4b819c5991fe208aaa96edf142730f1d)"
	.section	".note.GNU-stack","",@progbits
	.addrsig
	.addrsig_sym __hip_cuid_2cdde975556b43dc
	.amdgpu_metadata
---
amdhsa.kernels:
  - .args:
      - .actual_access:  read_only
        .address_space:  global
        .offset:         0
        .size:           8
        .value_kind:     global_buffer
      - .address_space:  global
        .offset:         8
        .size:           8
        .value_kind:     global_buffer
      - .offset:         16
        .size:           8
        .value_kind:     by_value
      - .actual_access:  read_only
        .address_space:  global
        .offset:         24
        .size:           8
        .value_kind:     global_buffer
      - .actual_access:  read_only
        .address_space:  global
        .offset:         32
        .size:           8
        .value_kind:     global_buffer
      - .offset:         40
        .size:           8
        .value_kind:     by_value
      - .actual_access:  read_only
        .address_space:  global
        .offset:         48
        .size:           8
        .value_kind:     global_buffer
      - .actual_access:  read_only
        .address_space:  global
        .offset:         56
        .size:           8
        .value_kind:     global_buffer
      - .offset:         64
        .size:           4
        .value_kind:     by_value
      - .actual_access:  read_only
        .address_space:  global
        .offset:         72
        .size:           8
        .value_kind:     global_buffer
      - .actual_access:  read_only
        .address_space:  global
        .offset:         80
        .size:           8
        .value_kind:     global_buffer
      - .address_space:  global
        .offset:         88
        .size:           8
        .value_kind:     global_buffer
    .group_segment_fixed_size: 0
    .kernarg_segment_align: 8
    .kernarg_segment_size: 96
    .language:       OpenCL C
    .language_version:
      - 2
      - 0
    .max_flat_workgroup_size: 160
    .name:           fft_rtc_fwd_len60_factors_6_10_wgs_160_tpt_10_half_ip_CI_sbcc_twdbase5_3step_dirReg_intrinsicRead
    .private_segment_fixed_size: 0
    .sgpr_count:     47
    .sgpr_spill_count: 0
    .symbol:         fft_rtc_fwd_len60_factors_6_10_wgs_160_tpt_10_half_ip_CI_sbcc_twdbase5_3step_dirReg_intrinsicRead.kd
    .uniform_work_group_size: 1
    .uses_dynamic_stack: false
    .vgpr_count:     63
    .vgpr_spill_count: 0
    .wavefront_size: 64
amdhsa.target:   amdgcn-amd-amdhsa--gfx906
amdhsa.version:
  - 1
  - 2
...

	.end_amdgpu_metadata
